;; amdgpu-corpus repo=ROCm/bitsandbytes kind=harvested arch=n/a opt=n/a
	.text
	.amdgcn_target "amdgcn-amd-amdhsa--gfx942"
	.amdhsa_code_object_version 6
	.protected	_Z21kOptimizer32bit2StateIfLi0EEvPT_S1_PfS2_S2_ffffffffiffbi ; -- Begin function _Z21kOptimizer32bit2StateIfLi0EEvPT_S1_PfS2_S2_ffffffffiffbi
	.globl	_Z21kOptimizer32bit2StateIfLi0EEvPT_S1_PfS2_S2_ffffffffiffbi
	.p2align	8
	.type	_Z21kOptimizer32bit2StateIfLi0EEvPT_S1_PfS2_S2_ffffffffiffbi,@function
_Z21kOptimizer32bit2StateIfLi0EEvPT_S1_PfS2_S2_ffffffffiffbi: ; @_Z21kOptimizer32bit2StateIfLi0EEvPT_S1_PfS2_S2_ffffffffiffbi
; %bb.0:
	s_load_dwordx4 s[16:19], s[0:1], 0x28
	s_load_dwordx2 s[4:5], s[0:1], 0x20
	s_load_dwordx8 s[8:15], s[0:1], 0x0
	s_load_dword s3, s[0:1], 0x6c
	v_mov_b32_e32 v1, 1.0
	s_waitcnt lgkmcnt(0)
	v_cmp_ngt_f32_e64 s[6:7], s16, 0
	s_and_b64 vcc, exec, s[6:7]
	s_cbranch_vccnz .LBB68_3
; %bb.1:
	s_load_dword s4, s[4:5], 0x0
	v_mov_b32_e32 v1, 0xf800000
	v_mov_b32_e32 v2, 0x4f800000
	s_waitcnt lgkmcnt(0)
	v_mul_f32_e32 v2, s4, v2
	v_mov_b32_e32 v3, s4
	v_cmp_lt_f32_e32 vcc, s4, v1
	s_nop 1
	v_cndmask_b32_e32 v1, v3, v2, vcc
	v_sqrt_f32_e32 v2, v1
	s_nop 0
	v_add_u32_e32 v3, -1, v2
	v_add_u32_e32 v4, 1, v2
	v_fma_f32 v5, -v3, v2, v1
	v_fma_f32 v6, -v4, v2, v1
	v_cmp_ge_f32_e64 s[4:5], 0, v5
	s_nop 1
	v_cndmask_b32_e64 v2, v2, v3, s[4:5]
	v_cmp_lt_f32_e64 s[4:5], 0, v6
	s_nop 1
	v_cndmask_b32_e64 v2, v2, v4, s[4:5]
	v_mul_f32_e32 v3, 0x37800000, v2
	v_cndmask_b32_e32 v2, v2, v3, vcc
	v_mov_b32_e32 v3, 0x260
	v_cmp_class_f32_e32 vcc, v1, v3
	s_nop 1
	v_cndmask_b32_e32 v2, v2, v1, vcc
	v_mov_b32_e32 v1, s17
	v_mul_f32_e32 v3, s16, v1
	v_cmp_ngt_f32_e32 vcc, v2, v3
	v_mov_b32_e32 v1, 1.0
	s_cbranch_vccnz .LBB68_3
; %bb.2:
	v_div_scale_f32 v1, s[4:5], v2, v2, v3
	v_rcp_f32_e32 v4, v1
	v_div_scale_f32 v5, vcc, v3, v2, v3
	v_fma_f32 v6, -v1, v4, 1.0
	v_fmac_f32_e32 v4, v6, v4
	v_mul_f32_e32 v6, v5, v4
	v_fma_f32 v7, -v1, v6, v5
	v_fmac_f32_e32 v6, v7, v4
	v_fma_f32 v1, -v1, v6, v5
	v_div_fmas_f32 v1, v1, v4, v6
	v_div_fixup_f32 v1, v1, v2, v3
.LBB68_3:
	s_load_dwordx4 s[20:23], s[0:1], 0x50
	s_waitcnt lgkmcnt(0)
	s_ashr_i32 s4, s22, 31
	s_lshr_b32 s4, s4, 20
	s_add_i32 s4, s22, s4
	s_and_b32 s5, s22, 0xfff
	s_and_b32 s6, s4, 0xfffff000
	s_cmp_lg_u32 s5, 0
	s_cselect_b64 s[4:5], -1, 0
	v_cndmask_b32_e64 v2, 0, 1, s[4:5]
	s_and_b32 s3, 0xffff, s3
	v_readfirstlane_b32 s4, v2
	s_mul_i32 s2, s2, s3
	s_lshl_b32 s30, s4, 12
	s_add_i32 s30, s30, s6
	s_lshl_b32 s16, s2, 2
	s_cmp_ge_u32 s16, s30
	s_cbranch_scc1 .LBB68_78
; %bb.4:
	s_load_dwordx4 s[24:27], s[0:1], 0x40
	v_cmp_neq_f32_e64 vcc, s18, 1.0
	v_mov_b32_e32 v18, s18
	v_mov_b32_e32 v22, 0x3e91f4c4
	s_mov_b32 s31, 0x3f317218
	s_waitcnt lgkmcnt(0)
	v_cvt_f32_i32_e32 v19, s26
	s_mov_b32 s26, 0x3f2aaaab
	s_bitcmp1_b32 s21, 0
	s_movk_i32 s21, 0x204
	v_cndmask_b32_e32 v20, 1.0, v19, vcc
	v_cmp_eq_f32_e32 vcc, 0, v20
	s_mov_b32 s23, 0x42b17218
	v_mov_b32_e32 v24, 0x37000000
	v_cndmask_b32_e64 v21, |v18|, 1.0, vcc
	v_frexp_mant_f32_e32 v2, v21
	v_cmp_gt_f32_e64 s[2:3], s26, v2
	s_mov_b32 s33, 0x3fb8aa3b
	s_mov_b32 s17, 0x7f800000
	v_cndmask_b32_e64 v3, 1.0, 2.0, s[2:3]
	v_mul_f32_e32 v2, v2, v3
	v_add_f32_e32 v5, 1.0, v2
	v_rcp_f32_e32 v10, v5
	v_add_f32_e32 v3, -1.0, v2
	v_add_f32_e32 v4, -1.0, v5
	v_sub_f32_e32 v2, v2, v4
	v_mul_f32_e32 v11, v3, v10
	v_mul_f32_e32 v4, v5, v11
	v_fma_f32 v6, v11, v5, -v4
	v_fmac_f32_e32 v6, v11, v2
	v_add_f32_e32 v2, v4, v6
	v_sub_f32_e32 v5, v3, v2
	v_pk_add_f32 v[8:9], v[2:3], v[4:5] neg_lo:[0,1] neg_hi:[0,1]
	v_mov_b32_e32 v7, v2
	v_pk_add_f32 v[2:3], v[8:9], v[6:7] neg_lo:[0,1] neg_hi:[0,1]
	s_mov_b32 s34, 0xc2ce8ed0
	v_add_f32_e32 v2, v2, v3
	v_add_f32_e32 v2, v5, v2
	v_mul_f32_e32 v3, v10, v2
	v_add_f32_e32 v2, v11, v3
	v_sub_f32_e32 v4, v2, v11
	v_sub_f32_e32 v12, v3, v4
	v_mul_f32_e32 v3, v2, v2
	v_fma_f32 v5, v2, v2, -v3
	v_add_f32_e32 v4, v12, v12
	v_fmac_f32_e32 v5, v2, v4
	v_add_f32_e32 v4, v3, v5
	v_fmamk_f32 v6, v4, 0x3e76c4e1, v22
	v_fmaak_f32 v6, v4, v6, 0x3ecccdef
	v_sub_f32_e32 v3, v4, v3
	v_sub_f32_e32 v13, v5, v3
	v_mul_f32_e32 v3, v4, v6
	v_fma_f32 v5, v4, v6, -v3
	v_fmac_f32_e32 v5, v13, v6
	v_add_f32_e32 v6, v3, v5
	v_add_f32_e32 v7, 0x3f2aaaaa, v6
	v_sub_f32_e32 v3, v6, v3
	v_sub_f32_e32 v3, v5, v3
	v_add_f32_e32 v5, 0xbf2aaaaa, v7
	v_add_f32_e32 v3, 0x31739010, v3
	v_sub_f32_e32 v5, v6, v5
	v_pk_mul_f32 v[8:9], v[2:3], v[4:5]
	v_pk_add_f32 v[10:11], v[2:3], v[4:5]
	v_fma_f32 v6, v4, v2, -v8
	v_fmac_f32_e32 v6, v4, v12
	v_mov_b32_e32 v9, v11
	v_fmac_f32_e32 v6, v13, v2
	v_pk_add_f32 v[4:5], v[8:9], v[6:7]
	v_ldexp_f32 v14, v12, 1
	v_sub_f32_e32 v3, v4, v8
	v_sub_f32_e32 v3, v6, v3
	;; [unrolled: 1-line block ×3, first 2 shown]
	v_add_f32_e32 v9, v11, v6
	v_mov_b32_e32 v6, v5
	v_pk_mul_f32 v[6:7], v[4:5], v[6:7]
	v_cvt_f64_f32_e32 v[10:11], v21
	v_frexp_exp_i32_f64_e32 v7, v[10:11]
	v_subbrev_co_u32_e64 v7, s[2:3], 0, v7, s[2:3]
	v_cvt_f32_i32_e32 v7, v7
	v_fma_f32 v8, v4, v5, -v6
	v_fmac_f32_e32 v8, v4, v9
	v_fmac_f32_e32 v8, v3, v5
	v_mul_f32_e32 v4, 0x3f317218, v7
	v_fma_f32 v10, v7, s31, -v4
	v_fmac_f32_e32 v10, 0xb102e308, v7
	v_ldexp_f32 v11, v2, 1
	v_add_f32_e32 v5, v6, v8
	v_pk_add_f32 v[2:3], v[4:5], v[10:11]
	v_mov_b32_e32 v12, v5
	v_mov_b32_e32 v13, v3
	;; [unrolled: 1-line block ×3, first 2 shown]
	v_pk_add_f32 v[6:7], v[12:13], v[6:7] neg_lo:[0,1] neg_hi:[0,1]
	v_mov_b32_e32 v9, v5
	v_pk_add_f32 v[6:7], v[8:9], v[6:7] neg_lo:[0,1] neg_hi:[0,1]
	v_mov_b32_e32 v11, v2
	v_add_f32_e32 v5, v14, v6
	v_add_f32_e32 v5, v5, v7
	v_pk_add_f32 v[6:7], v[2:3], v[4:5] neg_lo:[0,1] neg_hi:[0,1]
	v_pk_add_f32 v[8:9], v[2:3], v[4:5]
	v_mov_b32_e32 v12, v6
	v_mov_b32_e32 v13, v9
	v_pk_add_f32 v[12:13], v[10:11], v[12:13]
	v_pk_add_f32 v[6:7], v[10:11], v[6:7] neg_lo:[0,1] neg_hi:[0,1]
	v_mov_b32_e32 v4, v13
	v_pk_add_f32 v[14:15], v[4:5], v[2:3] neg_lo:[0,1] neg_hi:[0,1]
	v_mov_b32_e32 v12, v9
	v_mov_b32_e32 v15, v14
	;; [unrolled: 1-line block ×4, first 2 shown]
	v_pk_add_f32 v[16:17], v[8:9], v[14:15] neg_lo:[0,1] neg_hi:[0,1]
	v_pk_add_f32 v[2:3], v[12:13], v[2:3] neg_lo:[0,1] neg_hi:[0,1]
	v_mov_b32_e32 v10, v5
	v_pk_add_f32 v[2:3], v[10:11], v[2:3] neg_lo:[0,1] neg_hi:[0,1]
	v_mov_b32_e32 v16, v6
	v_pk_add_f32 v[8:9], v[16:17], v[2:3]
	v_mov_b32_e32 v7, v13
	v_mov_b32_e32 v10, v9
	v_pk_add_f32 v[10:11], v[8:9], v[10:11]
	v_mov_b32_e32 v25, 0x7f800000
	v_pk_add_f32 v[4:5], v[4:5], v[10:11]
	v_mov_b32_e32 v3, v10
	v_mov_b32_e32 v9, v4
	v_pk_add_f32 v[12:13], v[8:9], v[6:7] neg_lo:[0,1] neg_hi:[0,1]
	s_cselect_b64 s[28:29], -1, 0
	v_sub_f32_e32 v5, v8, v12
	v_pk_add_f32 v[2:3], v[2:3], v[12:13] neg_lo:[0,1] neg_hi:[0,1]
	v_sub_f32_e32 v5, v6, v5
	v_add_f32_e32 v2, v2, v5
	v_add_f32_e32 v2, v2, v3
	;; [unrolled: 1-line block ×3, first 2 shown]
	v_sub_f32_e32 v4, v3, v4
	v_sub_f32_e32 v2, v2, v4
	v_mul_f32_e32 v4, v20, v3
	v_fma_f32 v3, v20, v3, -v4
	v_fmac_f32_e32 v3, v20, v2
	v_add_f32_e32 v2, v4, v3
	v_cmp_class_f32_e64 s[2:3], v4, s21
	v_sub_f32_e32 v5, v2, v4
	v_sub_f32_e32 v3, v3, v5
	v_cndmask_b32_e64 v2, v2, v4, s[2:3]
	v_cmp_eq_f32_e64 s[2:3], s23, v2
	s_brev_b32 s35, -2
	v_mov_b32_e32 v26, 0x7fc00000
	v_cndmask_b32_e64 v4, 0, v24, s[2:3]
	v_sub_f32_e32 v5, v2, v4
	v_mul_f32_e32 v6, 0x3fb8aa3b, v5
	v_fma_f32 v7, v5, s33, -v6
	v_rndne_f32_e32 v8, v6
	v_fmac_f32_e32 v7, 0x32a5705f, v5
	v_sub_f32_e32 v6, v6, v8
	v_add_f32_e32 v6, v6, v7
	v_exp_f32_e32 v6, v6
	v_cvt_i32_f32_e32 v7, v8
	v_cmp_neq_f32_e64 s[2:3], |v2|, s17
	v_cmp_gt_f32_e64 s[6:7], 0, v20
	v_mov_b32_e32 v27, s19
	v_cndmask_b32_e64 v2, 0, v3, s[2:3]
	v_ldexp_f32 v3, v6, v7
	v_cmp_ngt_f32_e64 s[2:3], s34, v5
	v_add_f32_e32 v2, v4, v2
	v_trunc_f32_e32 v4, v20
	v_cndmask_b32_e64 v3, 0, v3, s[2:3]
	v_cmp_nlt_f32_e64 s[2:3], s23, v5
	v_mov_b32_e32 v23, 0x3ecccdef
	v_mov_b32_e32 v32, 0x260
	v_cndmask_b32_e64 v3, v25, v3, s[2:3]
	v_fma_f32 v2, v3, v2, v3
	v_cmp_class_f32_e64 s[2:3], v3, s21
	s_load_dword s0, s[0:1], 0x60
	v_sub_f32_e64 v42, 1.0, s18
	v_cndmask_b32_e64 v3, v2, v3, s[2:3]
	v_cndmask_b32_e64 v2, v18, 1.0, vcc
	v_cmp_eq_f32_e32 vcc, v4, v20
	v_mul_f32_e32 v4, 0.5, v20
	v_trunc_f32_e32 v5, v4
	v_cmp_neq_f32_e64 s[2:3], v5, v4
	s_and_b64 s[2:3], vcc, s[2:3]
	v_cmp_eq_f32_e64 s[4:5], 0, v2
	v_cndmask_b32_e64 v4, 1.0, v2, s[2:3]
	v_bfi_b32 v3, s35, v3, v4
	v_cndmask_b32_e32 v4, v26, v3, vcc
	v_cmp_gt_f32_e32 vcc, 0, v2
	s_xor_b64 s[6:7], s[6:7], s[4:5]
	v_cndmask_b32_e64 v5, 0, v2, s[2:3]
	v_cndmask_b32_e32 v3, v3, v4, vcc
	v_cmp_eq_f32_e32 vcc, s17, v21
	v_cndmask_b32_e64 v4, v25, 0, s[6:7]
	v_bfi_b32 v4, s35, v4, v5
	s_or_b64 vcc, vcc, s[4:5]
	v_cndmask_b32_e32 v20, v3, v4, vcc
	v_cmp_neq_f32_e64 vcc, s19, 1.0
	v_sub_f32_e64 v43, 1.0, s19
	s_nop 0
	v_cndmask_b32_e32 v21, 1.0, v19, vcc
	v_cmp_eq_f32_e32 vcc, 0, v21
	v_cmp_gt_f32_e64 s[6:7], 0, v21
	s_nop 0
	v_cndmask_b32_e64 v28, |v27|, 1.0, vcc
	v_frexp_mant_f32_e32 v3, v28
	v_cmp_gt_f32_e64 s[2:3], s26, v3
	s_mov_b32 s26, 0xf800000
	s_nop 0
	v_cndmask_b32_e64 v4, 1.0, 2.0, s[2:3]
	v_mul_f32_e32 v3, v3, v4
	v_add_f32_e32 v4, 1.0, v3
	v_rcp_f32_e32 v12, v4
	v_add_f32_e32 v5, -1.0, v4
	v_sub_f32_e32 v7, v3, v5
	v_add_f32_e32 v5, -1.0, v3
	v_mul_f32_e32 v3, v5, v12
	v_mul_f32_e32 v6, v4, v3
	v_fma_f32 v8, v3, v4, -v6
	v_fmac_f32_e32 v8, v3, v7
	v_add_f32_e32 v4, v6, v8
	v_sub_f32_e32 v7, v5, v4
	v_pk_add_f32 v[10:11], v[4:5], v[6:7] neg_lo:[0,1] neg_hi:[0,1]
	v_mov_b32_e32 v9, v4
	v_pk_add_f32 v[4:5], v[10:11], v[8:9] neg_lo:[0,1] neg_hi:[0,1]
	s_nop 0
	v_add_f32_e32 v4, v4, v5
	v_add_f32_e32 v4, v7, v4
	v_mul_f32_e32 v5, v12, v4
	v_add_f32_e32 v4, v3, v5
	v_sub_f32_e32 v3, v4, v3
	v_sub_f32_e32 v3, v5, v3
	v_mul_f32_e32 v5, v4, v4
	v_fma_f32 v7, v4, v4, -v5
	v_add_f32_e32 v6, v3, v3
	v_fmac_f32_e32 v7, v4, v6
	v_add_f32_e32 v6, v5, v7
	v_fmac_f32_e32 v22, 0x3e76c4e1, v6
	v_fmac_f32_e32 v23, v6, v22
	v_sub_f32_e32 v5, v6, v5
	v_sub_f32_e32 v14, v7, v5
	v_mul_f32_e32 v5, v6, v23
	v_fma_f32 v7, v6, v23, -v5
	v_fmac_f32_e32 v7, v14, v23
	v_add_f32_e32 v8, v5, v7
	v_add_f32_e32 v9, 0x3f2aaaaa, v8
	v_sub_f32_e32 v5, v8, v5
	v_sub_f32_e32 v5, v7, v5
	v_add_f32_e32 v7, 0xbf2aaaaa, v9
	v_add_f32_e32 v5, 0x31739010, v5
	v_sub_f32_e32 v7, v8, v7
	v_pk_mul_f32 v[10:11], v[4:5], v[6:7]
	v_pk_add_f32 v[12:13], v[4:5], v[6:7]
	v_fma_f32 v8, v6, v4, -v10
	v_fmac_f32_e32 v8, v6, v3
	v_mov_b32_e32 v11, v13
	v_fmac_f32_e32 v8, v14, v4
	v_pk_add_f32 v[6:7], v[10:11], v[8:9]
	v_ldexp_f32 v3, v3, 1
	v_sub_f32_e32 v5, v6, v10
	v_sub_f32_e32 v5, v8, v5
	;; [unrolled: 1-line block ×3, first 2 shown]
	v_add_f32_e32 v12, v13, v8
	v_mov_b32_e32 v8, v7
	v_pk_mul_f32 v[8:9], v[6:7], v[8:9]
	v_cvt_f64_f32_e32 v[10:11], v28
	v_frexp_exp_i32_f64_e32 v9, v[10:11]
	v_subbrev_co_u32_e64 v9, s[2:3], 0, v9, s[2:3]
	v_cvt_f32_i32_e32 v9, v9
	v_fma_f32 v10, v6, v7, -v8
	v_fmac_f32_e32 v10, v6, v12
	v_fmac_f32_e32 v10, v5, v7
	v_mul_f32_e32 v6, 0x3f317218, v9
	v_fma_f32 v12, v9, s31, -v6
	v_fmac_f32_e32 v12, 0xb102e308, v9
	v_ldexp_f32 v13, v4, 1
	v_add_f32_e32 v7, v8, v10
	v_pk_add_f32 v[4:5], v[6:7], v[12:13]
	v_mov_b32_e32 v14, v7
	v_mov_b32_e32 v15, v5
	;; [unrolled: 1-line block ×3, first 2 shown]
	v_pk_add_f32 v[8:9], v[14:15], v[8:9] neg_lo:[0,1] neg_hi:[0,1]
	v_mov_b32_e32 v11, v7
	v_pk_add_f32 v[8:9], v[10:11], v[8:9] neg_lo:[0,1] neg_hi:[0,1]
	v_mov_b32_e32 v13, v4
	v_add_f32_e32 v3, v3, v8
	v_add_f32_e32 v7, v3, v9
	v_pk_add_f32 v[8:9], v[4:5], v[6:7] neg_lo:[0,1] neg_hi:[0,1]
	v_pk_add_f32 v[10:11], v[4:5], v[6:7]
	v_mov_b32_e32 v14, v8
	v_mov_b32_e32 v15, v11
	v_pk_add_f32 v[14:15], v[12:13], v[14:15]
	v_pk_add_f32 v[8:9], v[12:13], v[8:9] neg_lo:[0,1] neg_hi:[0,1]
	v_mov_b32_e32 v6, v15
	v_pk_add_f32 v[16:17], v[6:7], v[4:5] neg_lo:[0,1] neg_hi:[0,1]
	v_mov_b32_e32 v14, v11
	v_mov_b32_e32 v3, v16
	;; [unrolled: 1-line block ×4, first 2 shown]
	v_pk_add_f32 v[18:19], v[10:11], v[2:3] neg_lo:[0,1] neg_hi:[0,1]
	v_pk_add_f32 v[4:5], v[14:15], v[4:5] neg_lo:[0,1] neg_hi:[0,1]
	v_mov_b32_e32 v12, v7
	v_pk_add_f32 v[4:5], v[12:13], v[4:5] neg_lo:[0,1] neg_hi:[0,1]
	v_mov_b32_e32 v18, v8
	v_pk_add_f32 v[10:11], v[18:19], v[4:5]
	v_mov_b32_e32 v9, v15
	v_mov_b32_e32 v12, v11
	v_pk_add_f32 v[12:13], v[10:11], v[12:13]
	s_nop 0
	v_pk_add_f32 v[6:7], v[6:7], v[12:13]
	v_mov_b32_e32 v5, v12
	v_mov_b32_e32 v11, v6
	v_pk_add_f32 v[14:15], v[10:11], v[8:9] neg_lo:[0,1] neg_hi:[0,1]
	s_nop 0
	v_sub_f32_e32 v3, v10, v14
	v_pk_add_f32 v[4:5], v[4:5], v[14:15] neg_lo:[0,1] neg_hi:[0,1]
	v_sub_f32_e32 v3, v8, v3
	v_add_f32_e32 v3, v4, v3
	v_add_f32_e32 v3, v3, v5
	;; [unrolled: 1-line block ×3, first 2 shown]
	v_sub_f32_e32 v5, v4, v6
	v_sub_f32_e32 v3, v3, v5
	v_mul_f32_e32 v5, v21, v4
	v_fma_f32 v4, v21, v4, -v5
	v_fmac_f32_e32 v4, v21, v3
	v_add_f32_e32 v3, v5, v4
	v_cmp_class_f32_e64 s[2:3], v5, s21
	v_sub_f32_e32 v6, v3, v5
	v_sub_f32_e32 v4, v4, v6
	v_cndmask_b32_e64 v3, v3, v5, s[2:3]
	v_cmp_eq_f32_e64 s[2:3], s23, v3
                                        ; implicit-def: $vgpr12_vgpr13_vgpr14_vgpr15
	s_nop 1
	v_cndmask_b32_e64 v5, 0, v24, s[2:3]
	v_sub_f32_e32 v6, v3, v5
	v_mul_f32_e32 v7, 0x3fb8aa3b, v6
	v_fma_f32 v8, v6, s33, -v7
	v_rndne_f32_e32 v9, v7
	v_fmac_f32_e32 v8, 0x32a5705f, v6
	v_sub_f32_e32 v7, v7, v9
	v_add_f32_e32 v7, v7, v8
	v_exp_f32_e32 v7, v7
	v_cvt_i32_f32_e32 v8, v9
	v_cmp_neq_f32_e64 s[2:3], |v3|, s17
	s_nop 1
	v_cndmask_b32_e64 v3, 0, v4, s[2:3]
	v_ldexp_f32 v4, v7, v8
	v_cmp_ngt_f32_e64 s[2:3], s34, v6
	v_add_f32_e32 v3, v5, v3
	v_trunc_f32_e32 v5, v21
	v_cndmask_b32_e64 v4, 0, v4, s[2:3]
	v_cmp_nlt_f32_e64 s[2:3], s23, v6
	s_nop 1
	v_cndmask_b32_e64 v4, v25, v4, s[2:3]
	v_fma_f32 v3, v4, v3, v4
	v_cmp_class_f32_e64 s[2:3], v4, s21
	s_mov_b32 s21, s20
	s_nop 0
	v_cndmask_b32_e64 v3, v3, v4, s[2:3]
	v_cndmask_b32_e64 v4, v27, 1.0, vcc
	v_cmp_eq_f32_e32 vcc, v5, v21
	v_mul_f32_e32 v5, 0.5, v21
	v_trunc_f32_e32 v6, v5
	v_cmp_neq_f32_e64 s[2:3], v6, v5
	s_and_b64 s[2:3], vcc, s[2:3]
	v_cmp_eq_f32_e64 s[4:5], 0, v4
	v_cndmask_b32_e64 v5, 1.0, v4, s[2:3]
	v_bfi_b32 v3, s35, v3, v5
	v_cndmask_b32_e32 v5, v26, v3, vcc
	v_cmp_gt_f32_e32 vcc, 0, v4
	s_xor_b64 s[6:7], s[6:7], s[4:5]
	v_cndmask_b32_e64 v6, 0, v4, s[2:3]
	v_cndmask_b32_e32 v3, v3, v5, vcc
	v_cmp_eq_f32_e32 vcc, s17, v28
	v_cndmask_b32_e64 v5, v25, 0, s[6:7]
	v_bfi_b32 v5, s35, v5, v6
	s_or_b64 vcc, vcc, s[4:5]
	v_cndmask_b32_e32 v3, v3, v5, vcc
	v_sub_f32_e32 v3, 1.0, v3
	v_cmp_o_f32_e32 vcc, v4, v4
	v_sub_f32_e32 v5, 1.0, v20
	v_cmp_o_f32_e64 s[2:3], v2, v2
	v_cndmask_b32_e32 v3, v26, v3, vcc
	v_mul_f32_e32 v4, 0x4f800000, v3
	v_cmp_gt_f32_e32 vcc, s26, v3
	v_cndmask_b32_e64 v2, v26, v5, s[2:3]
	s_mov_b32 s17, 0
	v_cndmask_b32_e32 v3, v3, v4, vcc
	v_sqrt_f32_e32 v4, v3
	s_nop 0
	v_add_u32_e32 v5, -1, v4
	v_fma_f32 v6, -v5, v4, v3
	v_cmp_ge_f32_e64 s[2:3], 0, v6
	v_add_u32_e32 v6, 1, v4
	s_nop 0
	v_cndmask_b32_e64 v5, v4, v5, s[2:3]
	v_fma_f32 v4, -v6, v4, v3
	v_cmp_lt_f32_e64 s[2:3], 0, v4
	s_nop 1
	v_cndmask_b32_e64 v4, v5, v6, s[2:3]
	v_mul_f32_e32 v5, 0x37800000, v4
	v_cndmask_b32_e32 v4, v4, v5, vcc
	v_cmp_class_f32_e32 vcc, v3, v32
	s_nop 1
	v_cndmask_b32_e32 v8, v4, v3, vcc
	v_mul_f32_e64 v3, v8, -s27
	v_div_scale_f32 v4, s[2:3], v2, v2, v3
	v_rcp_f32_e32 v5, v4
	v_mul_f32_e32 v25, s24, v8
	s_waitcnt lgkmcnt(0)
	s_lshl_b32 s24, s0, 12
	v_fma_f32 v6, -v4, v5, 1.0
	v_fmac_f32_e32 v5, v6, v5
	v_div_scale_f32 v6, vcc, v3, v2, v3
	v_mul_f32_e32 v7, v6, v5
	v_fma_f32 v9, -v4, v7, v6
	v_fmac_f32_e32 v7, v9, v5
	v_fma_f32 v4, -v4, v7, v6
	v_div_fmas_f32 v4, v4, v5, v7
	v_div_fixup_f32 v9, v4, v2, v3
	v_mbcnt_lo_u32_b32 v2, -1, 0
	v_mbcnt_hi_u32_b32 v10, -1, v2
	v_lshlrev_b32_e32 v2, 2, v0
	v_and_b32_e32 v11, 0xf00, v2
	v_lshlrev_b32_e32 v2, 2, v10
	v_mov_b32_e32 v3, 0
	v_lshl_add_u64 v[4:5], s[8:9], 0, v[2:3]
	v_lshlrev_b32_e32 v6, 2, v11
	v_mov_b32_e32 v7, v3
	v_or_b32_e32 v33, v10, v11
	v_lshl_add_u64 v[16:17], v[4:5], 0, v[6:7]
	v_add_u32_e32 v34, 64, v33
	v_lshrrev_b32_e32 v4, 5, v33
	v_or_b32_e32 v35, 0x80, v33
	v_add_lshl_u32 v37, v4, v33, 2
	v_lshrrev_b32_e32 v4, 5, v34
	v_add_u32_e32 v36, 0xc0, v33
	v_add_lshl_u32 v38, v4, v34, 2
	v_lshrrev_b32_e32 v4, 5, v35
	v_and_b32_e32 v0, 0x3c0, v0
	v_add_lshl_u32 v39, v4, v35, 2
	v_lshrrev_b32_e32 v4, 5, v36
	v_add_u32_e32 v0, v10, v0
	v_add_lshl_u32 v40, v4, v36, 2
	v_lshlrev_b32_e32 v4, 2, v0
	v_bfe_u32 v0, v0, 3, 27
	v_add_lshl_u32 v41, v0, v4, 2
	v_lshl_add_u64 v[4:5], s[12:13], 0, v[2:3]
	v_lshl_add_u64 v[18:19], v[4:5], 0, v[6:7]
	;; [unrolled: 1-line block ×4, first 2 shown]
	v_mov_b32_e32 v0, s27
	v_lshl_add_u64 v[20:21], v[4:5], 0, v[6:7]
	v_lshl_add_u64 v[22:23], v[2:3], 0, v[6:7]
	v_mul_f32_e32 v44, v9, v1
	v_cmp_gt_f32_e64 s[12:13], s25, 0
	v_fma_f32 v45, -s25, v0, 1.0
	s_sub_i32 s25, s22, s16
	s_xor_b64 s[14:15], s[28:29], -1
                                        ; implicit-def: $vgpr4_vgpr5_vgpr6_vgpr7
                                        ; implicit-def: $vgpr8_vgpr9_vgpr10_vgpr11
                                        ; implicit-def: $vgpr0_vgpr1_vgpr2_vgpr3
	s_branch .LBB68_6
.LBB68_5:                               ;   in Loop: Header=BB68_6 Depth=1
	s_or_b64 exec, exec, s[0:1]
	s_add_i32 s16, s16, s24
	s_sub_i32 s25, s25, s24
	s_cmp_ge_u32 s16, s30
	s_cbranch_scc1 .LBB68_78
.LBB68_6:                               ; =>This Inner Loop Header: Depth=1
	s_min_u32 s8, s25, 0x1000
	v_lshl_add_u64 v[26:27], s[16:17], 2, v[16:17]
	v_cmp_gt_u32_e64 s[0:1], s8, v33
	s_barrier
	s_and_saveexec_b64 s[2:3], s[0:1]
	s_cbranch_execnz .LBB68_56
; %bb.7:                                ;   in Loop: Header=BB68_6 Depth=1
	s_or_b64 exec, exec, s[2:3]
	v_cmp_gt_u32_e64 s[2:3], s8, v34
	s_and_saveexec_b64 s[4:5], s[2:3]
	s_cbranch_execnz .LBB68_57
.LBB68_8:                               ;   in Loop: Header=BB68_6 Depth=1
	s_or_b64 exec, exec, s[4:5]
	v_cmp_gt_u32_e64 s[4:5], s8, v35
	s_and_saveexec_b64 s[6:7], s[4:5]
	s_cbranch_execnz .LBB68_58
.LBB68_9:                               ;   in Loop: Header=BB68_6 Depth=1
	s_or_b64 exec, exec, s[6:7]
	v_cmp_gt_u32_e64 s[6:7], s8, v36
	s_and_saveexec_b64 s[8:9], s[6:7]
	s_cbranch_execz .LBB68_11
.LBB68_10:                              ;   in Loop: Header=BB68_6 Depth=1
	global_load_dword v3, v[26:27], off offset:768
.LBB68_11:                              ;   in Loop: Header=BB68_6 Depth=1
	s_or_b64 exec, exec, s[8:9]
	s_waitcnt vmcnt(0)
	ds_write_b32 v37, v0
	ds_write_b32 v38, v1
	;; [unrolled: 1-line block ×4, first 2 shown]
	; wave barrier
	ds_read2_b32 v[0:1], v41 offset1:1
	ds_read2_b32 v[2:3], v41 offset0:2 offset1:3
	v_lshl_add_u64 v[26:27], s[16:17], 2, v[18:19]
	s_waitcnt lgkmcnt(0)
	s_barrier
	s_and_saveexec_b64 s[8:9], s[0:1]
	s_cbranch_execnz .LBB68_59
; %bb.12:                               ;   in Loop: Header=BB68_6 Depth=1
	s_or_b64 exec, exec, s[8:9]
	s_and_saveexec_b64 s[8:9], s[2:3]
	s_cbranch_execnz .LBB68_60
.LBB68_13:                              ;   in Loop: Header=BB68_6 Depth=1
	s_or_b64 exec, exec, s[8:9]
	s_and_saveexec_b64 s[8:9], s[4:5]
	s_cbranch_execnz .LBB68_61
.LBB68_14:                              ;   in Loop: Header=BB68_6 Depth=1
	s_or_b64 exec, exec, s[8:9]
	s_and_saveexec_b64 s[8:9], s[6:7]
	s_cbranch_execz .LBB68_16
.LBB68_15:                              ;   in Loop: Header=BB68_6 Depth=1
	global_load_dword v15, v[26:27], off offset:768
.LBB68_16:                              ;   in Loop: Header=BB68_6 Depth=1
	s_or_b64 exec, exec, s[8:9]
	s_waitcnt vmcnt(0)
	ds_write_b32 v37, v12
	ds_write_b32 v38, v13
	;; [unrolled: 1-line block ×4, first 2 shown]
	; wave barrier
	ds_read2_b32 v[12:13], v41 offset1:1
	ds_read2_b32 v[14:15], v41 offset0:2 offset1:3
	v_lshl_add_u64 v[28:29], s[16:17], 2, v[20:21]
	s_waitcnt lgkmcnt(0)
	s_barrier
	s_and_saveexec_b64 s[8:9], s[0:1]
	s_cbranch_execnz .LBB68_62
; %bb.17:                               ;   in Loop: Header=BB68_6 Depth=1
	s_or_b64 exec, exec, s[8:9]
	s_and_saveexec_b64 s[8:9], s[2:3]
	s_cbranch_execnz .LBB68_63
.LBB68_18:                              ;   in Loop: Header=BB68_6 Depth=1
	s_or_b64 exec, exec, s[8:9]
	s_and_saveexec_b64 s[8:9], s[4:5]
	s_cbranch_execnz .LBB68_64
.LBB68_19:                              ;   in Loop: Header=BB68_6 Depth=1
	s_or_b64 exec, exec, s[8:9]
	s_and_saveexec_b64 s[8:9], s[6:7]
	s_cbranch_execz .LBB68_21
.LBB68_20:                              ;   in Loop: Header=BB68_6 Depth=1
	global_load_dword v11, v[28:29], off offset:768
.LBB68_21:                              ;   in Loop: Header=BB68_6 Depth=1
	s_or_b64 exec, exec, s[8:9]
	s_waitcnt vmcnt(0)
	ds_write_b32 v37, v8
	ds_write_b32 v38, v9
	;; [unrolled: 1-line block ×4, first 2 shown]
	; wave barrier
	ds_read2_b32 v[10:11], v41 offset1:1
	ds_read2_b32 v[8:9], v41 offset0:2 offset1:3
	v_lshl_add_u64 v[30:31], s[16:17], 2, v[22:23]
	s_waitcnt lgkmcnt(0)
	s_barrier
	s_and_saveexec_b64 s[8:9], s[0:1]
	s_cbranch_execnz .LBB68_65
; %bb.22:                               ;   in Loop: Header=BB68_6 Depth=1
	s_or_b64 exec, exec, s[8:9]
	s_and_saveexec_b64 s[8:9], s[2:3]
	s_cbranch_execnz .LBB68_66
.LBB68_23:                              ;   in Loop: Header=BB68_6 Depth=1
	s_or_b64 exec, exec, s[8:9]
	s_and_saveexec_b64 s[8:9], s[4:5]
	s_cbranch_execnz .LBB68_67
.LBB68_24:                              ;   in Loop: Header=BB68_6 Depth=1
	s_or_b64 exec, exec, s[8:9]
	s_and_saveexec_b64 s[8:9], s[6:7]
	s_cbranch_execz .LBB68_26
.LBB68_25:                              ;   in Loop: Header=BB68_6 Depth=1
	global_load_dword v7, v[30:31], off offset:768
.LBB68_26:                              ;   in Loop: Header=BB68_6 Depth=1
	s_or_b64 exec, exec, s[8:9]
	s_waitcnt vmcnt(0)
	ds_write_b32 v37, v4
	ds_write_b32 v38, v5
	;; [unrolled: 1-line block ×4, first 2 shown]
	; wave barrier
	ds_read2_b32 v[4:5], v41 offset1:1
	ds_read2_b32 v[6:7], v41 offset0:2 offset1:3
	v_pk_mul_f32 v[0:1], v[0:1], s[20:21]
	v_cndmask_b32_e64 v24, 0, 1, s[12:13]
	v_cmp_neq_f32_e32 vcc, 0, v0
	s_or_b64 s[10:11], s[14:15], vcc
	v_cmp_ne_u32_e64 s[8:9], 1, v24
	s_and_saveexec_b64 s[22:23], s[10:11]
	s_cbranch_execz .LBB68_30
; %bb.27:                               ;   in Loop: Header=BB68_6 Depth=1
	v_mul_f32_e32 v24, v0, v0
	v_mul_f32_e32 v46, v43, v24
	v_fmac_f32_e32 v46, s19, v10
	v_mul_f32_e32 v10, 0x4f800000, v46
	v_cmp_gt_f32_e32 vcc, s26, v46
	v_mul_f32_e32 v24, s18, v12
	v_mul_f32_e32 v48, v42, v0
	v_cndmask_b32_e32 v10, v46, v10, vcc
	v_sqrt_f32_e32 v47, v10
	s_nop 0
	v_add_u32_e32 v12, -1, v47
	v_fma_f32 v49, -v12, v47, v10
	v_cmp_ge_f32_e64 s[10:11], 0, v49
	v_add_u32_e32 v49, 1, v47
	s_nop 0
	v_cndmask_b32_e64 v12, v47, v12, s[10:11]
	v_fma_f32 v47, -v49, v47, v10
	v_cmp_lt_f32_e64 s[10:11], 0, v47
	s_nop 1
	v_cndmask_b32_e64 v12, v12, v49, s[10:11]
	v_mul_f32_e32 v47, 0x37800000, v12
	v_cndmask_b32_e32 v12, v12, v47, vcc
	v_cmp_class_f32_e32 vcc, v10, v32
	s_nop 1
	v_cndmask_b32_e32 v49, v12, v10, vcc
	v_pk_add_f32 v[48:49], v[24:25], v[48:49]
	s_nop 0
	v_div_scale_f32 v10, s[10:11], v49, v49, v48
	v_rcp_f32_e32 v24, v10
	v_mov_b32_e32 v12, v48
	v_fma_f32 v47, -v10, v24, 1.0
	v_fmac_f32_e32 v24, v47, v24
	v_div_scale_f32 v47, vcc, v48, v49, v48
	v_mul_f32_e32 v50, v47, v24
	v_fma_f32 v51, -v10, v50, v47
	v_fmac_f32_e32 v50, v51, v24
	v_fma_f32 v10, -v10, v50, v47
	v_div_fmas_f32 v10, v10, v24, v50
	v_div_fixup_f32 v10, v10, v49, v48
	s_and_b64 vcc, exec, s[8:9]
	s_waitcnt lgkmcnt(1)
	v_fmac_f32_e32 v4, v44, v10
	s_cbranch_vccnz .LBB68_29
; %bb.28:                               ;   in Loop: Header=BB68_6 Depth=1
	v_mul_f32_e32 v4, v45, v4
.LBB68_29:                              ;   in Loop: Header=BB68_6 Depth=1
	v_mov_b32_e32 v10, v46
.LBB68_30:                              ;   in Loop: Header=BB68_6 Depth=1
	s_or_b64 exec, exec, s[22:23]
	v_cmp_neq_f32_e32 vcc, 0, v1
	s_or_b64 s[10:11], s[14:15], vcc
	s_and_saveexec_b64 s[22:23], s[10:11]
	s_cbranch_execz .LBB68_34
; %bb.31:                               ;   in Loop: Header=BB68_6 Depth=1
	v_mul_f32_e32 v24, v1, v1
	v_mul_f32_e32 v46, v43, v24
	v_fmac_f32_e32 v46, s19, v11
	v_mul_f32_e32 v11, 0x4f800000, v46
	v_cmp_gt_f32_e32 vcc, s26, v46
	v_mul_f32_e32 v24, s18, v13
	v_mul_f32_e32 v48, v42, v1
	v_cndmask_b32_e32 v11, v46, v11, vcc
	v_sqrt_f32_e32 v47, v11
	s_nop 0
	v_add_u32_e32 v13, -1, v47
	v_fma_f32 v49, -v13, v47, v11
	v_cmp_ge_f32_e64 s[10:11], 0, v49
	v_add_u32_e32 v49, 1, v47
	s_nop 0
	v_cndmask_b32_e64 v13, v47, v13, s[10:11]
	v_fma_f32 v47, -v49, v47, v11
	v_cmp_lt_f32_e64 s[10:11], 0, v47
	s_nop 1
	v_cndmask_b32_e64 v13, v13, v49, s[10:11]
	v_mul_f32_e32 v47, 0x37800000, v13
	v_cndmask_b32_e32 v13, v13, v47, vcc
	v_cmp_class_f32_e32 vcc, v11, v32
	s_nop 1
	v_cndmask_b32_e32 v49, v13, v11, vcc
	v_pk_add_f32 v[48:49], v[24:25], v[48:49]
	s_nop 0
	v_div_scale_f32 v11, s[10:11], v49, v49, v48
	v_rcp_f32_e32 v24, v11
	v_mov_b32_e32 v13, v48
	v_fma_f32 v47, -v11, v24, 1.0
	v_fmac_f32_e32 v24, v47, v24
	v_div_scale_f32 v47, vcc, v48, v49, v48
	v_mul_f32_e32 v50, v47, v24
	v_fma_f32 v51, -v11, v50, v47
	v_fmac_f32_e32 v50, v51, v24
	v_fma_f32 v11, -v11, v50, v47
	v_div_fmas_f32 v11, v11, v24, v50
	v_div_fixup_f32 v11, v11, v49, v48
	s_and_b64 vcc, exec, s[8:9]
	s_waitcnt lgkmcnt(1)
	v_fma_f32 v5, v44, v11, v5
	s_cbranch_vccnz .LBB68_33
; %bb.32:                               ;   in Loop: Header=BB68_6 Depth=1
	v_mul_f32_e32 v5, v45, v5
.LBB68_33:                              ;   in Loop: Header=BB68_6 Depth=1
	v_mov_b32_e32 v11, v46
.LBB68_34:                              ;   in Loop: Header=BB68_6 Depth=1
	s_or_b64 exec, exec, s[22:23]
	v_pk_mul_f32 v[2:3], v[2:3], s[20:21]
	s_nop 0
	v_cmp_neq_f32_e32 vcc, 0, v2
	s_or_b64 s[10:11], s[14:15], vcc
	s_and_saveexec_b64 s[22:23], s[10:11]
	s_cbranch_execz .LBB68_38
; %bb.35:                               ;   in Loop: Header=BB68_6 Depth=1
	v_mul_f32_e32 v24, v2, v2
	v_mul_f32_e32 v46, v43, v24
	v_fmac_f32_e32 v46, s19, v8
	v_mul_f32_e32 v8, 0x4f800000, v46
	v_cmp_gt_f32_e32 vcc, s26, v46
	v_mul_f32_e32 v24, s18, v14
	v_mul_f32_e32 v48, v42, v2
	v_cndmask_b32_e32 v8, v46, v8, vcc
	v_sqrt_f32_e32 v47, v8
	s_nop 0
	v_add_u32_e32 v14, -1, v47
	v_fma_f32 v49, -v14, v47, v8
	v_cmp_ge_f32_e64 s[10:11], 0, v49
	v_add_u32_e32 v49, 1, v47
	s_nop 0
	v_cndmask_b32_e64 v14, v47, v14, s[10:11]
	v_fma_f32 v47, -v49, v47, v8
	v_cmp_lt_f32_e64 s[10:11], 0, v47
	s_nop 1
	v_cndmask_b32_e64 v14, v14, v49, s[10:11]
	v_mul_f32_e32 v47, 0x37800000, v14
	v_cndmask_b32_e32 v14, v14, v47, vcc
	v_cmp_class_f32_e32 vcc, v8, v32
	s_nop 1
	v_cndmask_b32_e32 v49, v14, v8, vcc
	v_pk_add_f32 v[48:49], v[24:25], v[48:49]
	s_nop 0
	v_div_scale_f32 v8, s[10:11], v49, v49, v48
	v_rcp_f32_e32 v24, v8
	v_mov_b32_e32 v14, v48
	v_fma_f32 v47, -v8, v24, 1.0
	v_fmac_f32_e32 v24, v47, v24
	v_div_scale_f32 v47, vcc, v48, v49, v48
	v_mul_f32_e32 v50, v47, v24
	v_fma_f32 v51, -v8, v50, v47
	v_fmac_f32_e32 v50, v51, v24
	v_fma_f32 v8, -v8, v50, v47
	v_div_fmas_f32 v8, v8, v24, v50
	v_div_fixup_f32 v8, v8, v49, v48
	s_and_b64 vcc, exec, s[8:9]
	s_waitcnt lgkmcnt(0)
	v_fma_f32 v6, v44, v8, v6
	s_cbranch_vccnz .LBB68_37
; %bb.36:                               ;   in Loop: Header=BB68_6 Depth=1
	v_mul_f32_e32 v6, v45, v6
.LBB68_37:                              ;   in Loop: Header=BB68_6 Depth=1
	v_mov_b32_e32 v8, v46
.LBB68_38:                              ;   in Loop: Header=BB68_6 Depth=1
	s_or_b64 exec, exec, s[22:23]
	v_cmp_neq_f32_e32 vcc, 0, v3
	s_or_b64 s[10:11], s[14:15], vcc
	s_and_saveexec_b64 s[22:23], s[10:11]
	s_cbranch_execz .LBB68_42
; %bb.39:                               ;   in Loop: Header=BB68_6 Depth=1
	v_mul_f32_e32 v24, v3, v3
	v_mul_f32_e32 v46, v43, v24
	v_fmac_f32_e32 v46, s19, v9
	v_mul_f32_e32 v9, 0x4f800000, v46
	v_cmp_gt_f32_e32 vcc, s26, v46
	v_mul_f32_e32 v24, s18, v15
	v_mul_f32_e32 v48, v42, v3
	v_cndmask_b32_e32 v9, v46, v9, vcc
	v_sqrt_f32_e32 v47, v9
	s_nop 0
	v_add_u32_e32 v15, -1, v47
	v_fma_f32 v49, -v15, v47, v9
	v_cmp_ge_f32_e64 s[10:11], 0, v49
	v_add_u32_e32 v49, 1, v47
	s_nop 0
	v_cndmask_b32_e64 v15, v47, v15, s[10:11]
	v_fma_f32 v47, -v49, v47, v9
	v_cmp_lt_f32_e64 s[10:11], 0, v47
	s_nop 1
	v_cndmask_b32_e64 v15, v15, v49, s[10:11]
	v_mul_f32_e32 v47, 0x37800000, v15
	v_cndmask_b32_e32 v15, v15, v47, vcc
	v_cmp_class_f32_e32 vcc, v9, v32
	s_nop 1
	v_cndmask_b32_e32 v49, v15, v9, vcc
	v_pk_add_f32 v[48:49], v[24:25], v[48:49]
	s_nop 0
	v_div_scale_f32 v9, s[10:11], v49, v49, v48
	v_rcp_f32_e32 v24, v9
	v_mov_b32_e32 v15, v48
	v_fma_f32 v47, -v9, v24, 1.0
	v_fmac_f32_e32 v24, v47, v24
	v_div_scale_f32 v47, vcc, v48, v49, v48
	v_mul_f32_e32 v50, v47, v24
	v_fma_f32 v51, -v9, v50, v47
	v_fmac_f32_e32 v50, v51, v24
	v_fma_f32 v9, -v9, v50, v47
	v_div_fmas_f32 v9, v9, v24, v50
	v_div_fixup_f32 v9, v9, v49, v48
	s_and_b64 vcc, exec, s[8:9]
	s_waitcnt lgkmcnt(0)
	v_fma_f32 v7, v44, v9, v7
	s_cbranch_vccnz .LBB68_41
; %bb.40:                               ;   in Loop: Header=BB68_6 Depth=1
	v_mul_f32_e32 v7, v45, v7
.LBB68_41:                              ;   in Loop: Header=BB68_6 Depth=1
	v_mov_b32_e32 v9, v46
.LBB68_42:                              ;   in Loop: Header=BB68_6 Depth=1
	s_or_b64 exec, exec, s[22:23]
	s_waitcnt lgkmcnt(0)
	s_barrier
	ds_write2_b32 v41, v4, v5 offset1:1
	ds_write2_b32 v41, v6, v7 offset0:2 offset1:3
	; wave barrier
	ds_read_b32 v4, v37
	ds_read_b32 v5, v38
	ds_read_b32 v6, v39
	ds_read_b32 v7, v40
	s_and_saveexec_b64 s[8:9], s[0:1]
	s_xor_b64 s[8:9], exec, s[8:9]
	s_cbranch_execnz .LBB68_68
; %bb.43:                               ;   in Loop: Header=BB68_6 Depth=1
	s_or_b64 exec, exec, s[8:9]
	s_and_saveexec_b64 s[8:9], s[2:3]
	s_cbranch_execnz .LBB68_69
.LBB68_44:                              ;   in Loop: Header=BB68_6 Depth=1
	s_or_b64 exec, exec, s[8:9]
	s_and_saveexec_b64 s[8:9], s[4:5]
	s_cbranch_execnz .LBB68_70
.LBB68_45:                              ;   in Loop: Header=BB68_6 Depth=1
	s_or_b64 exec, exec, s[8:9]
	s_and_saveexec_b64 s[8:9], s[6:7]
	s_cbranch_execz .LBB68_47
.LBB68_46:                              ;   in Loop: Header=BB68_6 Depth=1
	s_waitcnt lgkmcnt(0)
	global_store_dword v[30:31], v7, off offset:768
.LBB68_47:                              ;   in Loop: Header=BB68_6 Depth=1
	s_or_b64 exec, exec, s[8:9]
	s_waitcnt lgkmcnt(0)
	s_barrier
	ds_write2_b32 v41, v12, v13 offset1:1
	ds_write2_b32 v41, v14, v15 offset0:2 offset1:3
	; wave barrier
	ds_read_b32 v12, v37
	ds_read_b32 v13, v38
	;; [unrolled: 1-line block ×4, first 2 shown]
	s_and_saveexec_b64 s[8:9], s[0:1]
	s_cbranch_execnz .LBB68_71
; %bb.48:                               ;   in Loop: Header=BB68_6 Depth=1
	s_or_b64 exec, exec, s[8:9]
	s_and_saveexec_b64 s[8:9], s[2:3]
	s_cbranch_execnz .LBB68_72
.LBB68_49:                              ;   in Loop: Header=BB68_6 Depth=1
	s_or_b64 exec, exec, s[8:9]
	s_and_saveexec_b64 s[8:9], s[4:5]
	s_cbranch_execnz .LBB68_73
.LBB68_50:                              ;   in Loop: Header=BB68_6 Depth=1
	s_or_b64 exec, exec, s[8:9]
	s_and_saveexec_b64 s[8:9], s[6:7]
	s_cbranch_execz .LBB68_52
.LBB68_51:                              ;   in Loop: Header=BB68_6 Depth=1
	s_waitcnt lgkmcnt(0)
	global_store_dword v[26:27], v15, off offset:768
.LBB68_52:                              ;   in Loop: Header=BB68_6 Depth=1
	s_or_b64 exec, exec, s[8:9]
	s_waitcnt lgkmcnt(0)
	s_barrier
	ds_write2_b32 v41, v10, v11 offset1:1
	ds_write2_b32 v41, v8, v9 offset0:2 offset1:3
	; wave barrier
	ds_read_b32 v8, v37
	ds_read_b32 v9, v38
	ds_read_b32 v10, v39
	ds_read_b32 v11, v40
	s_and_saveexec_b64 s[8:9], s[0:1]
	s_cbranch_execnz .LBB68_74
; %bb.53:                               ;   in Loop: Header=BB68_6 Depth=1
	s_or_b64 exec, exec, s[8:9]
	s_and_saveexec_b64 s[0:1], s[2:3]
	s_cbranch_execnz .LBB68_75
.LBB68_54:                              ;   in Loop: Header=BB68_6 Depth=1
	s_or_b64 exec, exec, s[0:1]
	s_and_saveexec_b64 s[0:1], s[4:5]
	s_cbranch_execnz .LBB68_76
.LBB68_55:                              ;   in Loop: Header=BB68_6 Depth=1
	s_or_b64 exec, exec, s[0:1]
	s_and_saveexec_b64 s[0:1], s[6:7]
	s_cbranch_execz .LBB68_5
	s_branch .LBB68_77
.LBB68_56:                              ;   in Loop: Header=BB68_6 Depth=1
	global_load_dword v0, v[26:27], off
	s_or_b64 exec, exec, s[2:3]
	v_cmp_gt_u32_e64 s[2:3], s8, v34
	s_and_saveexec_b64 s[4:5], s[2:3]
	s_cbranch_execz .LBB68_8
.LBB68_57:                              ;   in Loop: Header=BB68_6 Depth=1
	global_load_dword v1, v[26:27], off offset:256
	s_or_b64 exec, exec, s[4:5]
	v_cmp_gt_u32_e64 s[4:5], s8, v35
	s_and_saveexec_b64 s[6:7], s[4:5]
	s_cbranch_execz .LBB68_9
.LBB68_58:                              ;   in Loop: Header=BB68_6 Depth=1
	global_load_dword v2, v[26:27], off offset:512
	s_or_b64 exec, exec, s[6:7]
	v_cmp_gt_u32_e64 s[6:7], s8, v36
	s_and_saveexec_b64 s[8:9], s[6:7]
	s_cbranch_execnz .LBB68_10
	s_branch .LBB68_11
.LBB68_59:                              ;   in Loop: Header=BB68_6 Depth=1
	global_load_dword v12, v[26:27], off
	s_or_b64 exec, exec, s[8:9]
	s_and_saveexec_b64 s[8:9], s[2:3]
	s_cbranch_execz .LBB68_13
.LBB68_60:                              ;   in Loop: Header=BB68_6 Depth=1
	global_load_dword v13, v[26:27], off offset:256
	s_or_b64 exec, exec, s[8:9]
	s_and_saveexec_b64 s[8:9], s[4:5]
	s_cbranch_execz .LBB68_14
.LBB68_61:                              ;   in Loop: Header=BB68_6 Depth=1
	global_load_dword v14, v[26:27], off offset:512
	s_or_b64 exec, exec, s[8:9]
	s_and_saveexec_b64 s[8:9], s[6:7]
	s_cbranch_execnz .LBB68_15
	s_branch .LBB68_16
.LBB68_62:                              ;   in Loop: Header=BB68_6 Depth=1
	global_load_dword v8, v[28:29], off
	s_or_b64 exec, exec, s[8:9]
	s_and_saveexec_b64 s[8:9], s[2:3]
	s_cbranch_execz .LBB68_18
.LBB68_63:                              ;   in Loop: Header=BB68_6 Depth=1
	global_load_dword v9, v[28:29], off offset:256
	s_or_b64 exec, exec, s[8:9]
	s_and_saveexec_b64 s[8:9], s[4:5]
	s_cbranch_execz .LBB68_19
.LBB68_64:                              ;   in Loop: Header=BB68_6 Depth=1
	global_load_dword v10, v[28:29], off offset:512
	s_or_b64 exec, exec, s[8:9]
	s_and_saveexec_b64 s[8:9], s[6:7]
	s_cbranch_execnz .LBB68_20
	s_branch .LBB68_21
.LBB68_65:                              ;   in Loop: Header=BB68_6 Depth=1
	global_load_dword v4, v[30:31], off
	s_or_b64 exec, exec, s[8:9]
	s_and_saveexec_b64 s[8:9], s[2:3]
	s_cbranch_execz .LBB68_23
.LBB68_66:                              ;   in Loop: Header=BB68_6 Depth=1
	global_load_dword v5, v[30:31], off offset:256
	s_or_b64 exec, exec, s[8:9]
	s_and_saveexec_b64 s[8:9], s[4:5]
	s_cbranch_execz .LBB68_24
.LBB68_67:                              ;   in Loop: Header=BB68_6 Depth=1
	global_load_dword v6, v[30:31], off offset:512
	s_or_b64 exec, exec, s[8:9]
	s_and_saveexec_b64 s[8:9], s[6:7]
	s_cbranch_execnz .LBB68_25
	s_branch .LBB68_26
.LBB68_68:                              ;   in Loop: Header=BB68_6 Depth=1
	s_waitcnt lgkmcnt(3)
	global_store_dword v[30:31], v4, off
	s_or_b64 exec, exec, s[8:9]
	s_and_saveexec_b64 s[8:9], s[2:3]
	s_cbranch_execz .LBB68_44
.LBB68_69:                              ;   in Loop: Header=BB68_6 Depth=1
	s_waitcnt lgkmcnt(2)
	global_store_dword v[30:31], v5, off offset:256
	s_or_b64 exec, exec, s[8:9]
	s_and_saveexec_b64 s[8:9], s[4:5]
	s_cbranch_execz .LBB68_45
.LBB68_70:                              ;   in Loop: Header=BB68_6 Depth=1
	s_waitcnt lgkmcnt(1)
	global_store_dword v[30:31], v6, off offset:512
	s_or_b64 exec, exec, s[8:9]
	s_and_saveexec_b64 s[8:9], s[6:7]
	s_cbranch_execnz .LBB68_46
	s_branch .LBB68_47
.LBB68_71:                              ;   in Loop: Header=BB68_6 Depth=1
	s_waitcnt lgkmcnt(3)
	global_store_dword v[26:27], v12, off
	s_or_b64 exec, exec, s[8:9]
	s_and_saveexec_b64 s[8:9], s[2:3]
	s_cbranch_execz .LBB68_49
.LBB68_72:                              ;   in Loop: Header=BB68_6 Depth=1
	s_waitcnt lgkmcnt(2)
	global_store_dword v[26:27], v13, off offset:256
	s_or_b64 exec, exec, s[8:9]
	s_and_saveexec_b64 s[8:9], s[4:5]
	s_cbranch_execz .LBB68_50
.LBB68_73:                              ;   in Loop: Header=BB68_6 Depth=1
	s_waitcnt lgkmcnt(1)
	global_store_dword v[26:27], v14, off offset:512
	s_or_b64 exec, exec, s[8:9]
	s_and_saveexec_b64 s[8:9], s[6:7]
	s_cbranch_execnz .LBB68_51
	s_branch .LBB68_52
.LBB68_74:                              ;   in Loop: Header=BB68_6 Depth=1
	s_waitcnt lgkmcnt(3)
	global_store_dword v[28:29], v8, off
	s_or_b64 exec, exec, s[8:9]
	s_and_saveexec_b64 s[0:1], s[2:3]
	s_cbranch_execz .LBB68_54
.LBB68_75:                              ;   in Loop: Header=BB68_6 Depth=1
	s_waitcnt lgkmcnt(2)
	global_store_dword v[28:29], v9, off offset:256
	s_or_b64 exec, exec, s[0:1]
	s_and_saveexec_b64 s[0:1], s[4:5]
	s_cbranch_execz .LBB68_55
.LBB68_76:                              ;   in Loop: Header=BB68_6 Depth=1
	s_waitcnt lgkmcnt(1)
	global_store_dword v[28:29], v10, off offset:512
	s_or_b64 exec, exec, s[0:1]
	s_and_saveexec_b64 s[0:1], s[6:7]
	s_cbranch_execz .LBB68_5
.LBB68_77:                              ;   in Loop: Header=BB68_6 Depth=1
	s_waitcnt lgkmcnt(0)
	global_store_dword v[28:29], v11, off offset:768
	s_branch .LBB68_5
.LBB68_78:
	s_endpgm
	.section	.rodata,"a",@progbits
	.p2align	6, 0x0
	.amdhsa_kernel _Z21kOptimizer32bit2StateIfLi0EEvPT_S1_PfS2_S2_ffffffffiffbi
		.amdhsa_group_segment_fixed_size 16896
		.amdhsa_private_segment_fixed_size 0
		.amdhsa_kernarg_size 352
		.amdhsa_user_sgpr_count 2
		.amdhsa_user_sgpr_dispatch_ptr 0
		.amdhsa_user_sgpr_queue_ptr 0
		.amdhsa_user_sgpr_kernarg_segment_ptr 1
		.amdhsa_user_sgpr_dispatch_id 0
		.amdhsa_user_sgpr_kernarg_preload_length 0
		.amdhsa_user_sgpr_kernarg_preload_offset 0
		.amdhsa_user_sgpr_private_segment_size 0
		.amdhsa_uses_dynamic_stack 0
		.amdhsa_enable_private_segment 0
		.amdhsa_system_sgpr_workgroup_id_x 1
		.amdhsa_system_sgpr_workgroup_id_y 0
		.amdhsa_system_sgpr_workgroup_id_z 0
		.amdhsa_system_sgpr_workgroup_info 0
		.amdhsa_system_vgpr_workitem_id 0
		.amdhsa_next_free_vgpr 52
		.amdhsa_next_free_sgpr 36
		.amdhsa_accum_offset 52
		.amdhsa_reserve_vcc 1
		.amdhsa_float_round_mode_32 0
		.amdhsa_float_round_mode_16_64 0
		.amdhsa_float_denorm_mode_32 3
		.amdhsa_float_denorm_mode_16_64 3
		.amdhsa_dx10_clamp 1
		.amdhsa_ieee_mode 1
		.amdhsa_fp16_overflow 0
		.amdhsa_tg_split 0
		.amdhsa_exception_fp_ieee_invalid_op 0
		.amdhsa_exception_fp_denorm_src 0
		.amdhsa_exception_fp_ieee_div_zero 0
		.amdhsa_exception_fp_ieee_overflow 0
		.amdhsa_exception_fp_ieee_underflow 0
		.amdhsa_exception_fp_ieee_inexact 0
		.amdhsa_exception_int_div_zero 0
	.end_amdhsa_kernel
	.section	.text._Z21kOptimizer32bit2StateIfLi0EEvPT_S1_PfS2_S2_ffffffffiffbi,"axG",@progbits,_Z21kOptimizer32bit2StateIfLi0EEvPT_S1_PfS2_S2_ffffffffiffbi,comdat
.Lfunc_end68:
	.size	_Z21kOptimizer32bit2StateIfLi0EEvPT_S1_PfS2_S2_ffffffffiffbi, .Lfunc_end68-_Z21kOptimizer32bit2StateIfLi0EEvPT_S1_PfS2_S2_ffffffffiffbi
                                        ; -- End function
	.section	.AMDGPU.csdata,"",@progbits
; Kernel info:
; codeLenInByte = 5496
; NumSgprs: 42
; NumVgprs: 52
; NumAgprs: 0
; TotalNumVgprs: 52
; ScratchSize: 0
; MemoryBound: 0
; FloatMode: 240
; IeeeMode: 1
; LDSByteSize: 16896 bytes/workgroup (compile time only)
; SGPRBlocks: 5
; VGPRBlocks: 6
; NumSGPRsForWavesPerEU: 42
; NumVGPRsForWavesPerEU: 52
; AccumOffset: 52
; Occupancy: 8
; WaveLimiterHint : 0
; COMPUTE_PGM_RSRC2:SCRATCH_EN: 0
; COMPUTE_PGM_RSRC2:USER_SGPR: 2
; COMPUTE_PGM_RSRC2:TRAP_HANDLER: 0
; COMPUTE_PGM_RSRC2:TGID_X_EN: 1
; COMPUTE_PGM_RSRC2:TGID_Y_EN: 0
; COMPUTE_PGM_RSRC2:TGID_Z_EN: 0
; COMPUTE_PGM_RSRC2:TIDIG_COMP_CNT: 0
; COMPUTE_PGM_RSRC3_GFX90A:ACCUM_OFFSET: 12
; COMPUTE_PGM_RSRC3_GFX90A:TG_SPLIT: 0
	.section	.text._Z21kOptimizer32bit2StateI6__halfLi0EEvPT_S2_PfS3_S3_ffffffffiffbi,"axG",@progbits,_Z21kOptimizer32bit2StateI6__halfLi0EEvPT_S2_PfS3_S3_ffffffffiffbi,comdat
